;; amdgpu-corpus repo=ROCm/rocFFT kind=compiled arch=gfx906 opt=O3
	.text
	.amdgcn_target "amdgcn-amd-amdhsa--gfx906"
	.amdhsa_code_object_version 6
	.protected	fft_rtc_back_len640_factors_8_10_8_wgs_128_tpt_64_halfLds_dp_ip_CI_unitstride_sbrr_C2R_dirReg ; -- Begin function fft_rtc_back_len640_factors_8_10_8_wgs_128_tpt_64_halfLds_dp_ip_CI_unitstride_sbrr_C2R_dirReg
	.globl	fft_rtc_back_len640_factors_8_10_8_wgs_128_tpt_64_halfLds_dp_ip_CI_unitstride_sbrr_C2R_dirReg
	.p2align	8
	.type	fft_rtc_back_len640_factors_8_10_8_wgs_128_tpt_64_halfLds_dp_ip_CI_unitstride_sbrr_C2R_dirReg,@function
fft_rtc_back_len640_factors_8_10_8_wgs_128_tpt_64_halfLds_dp_ip_CI_unitstride_sbrr_C2R_dirReg: ; @fft_rtc_back_len640_factors_8_10_8_wgs_128_tpt_64_halfLds_dp_ip_CI_unitstride_sbrr_C2R_dirReg
; %bb.0:
	s_load_dwordx2 s[12:13], s[4:5], 0x50
	s_load_dwordx4 s[8:11], s[4:5], 0x0
	s_load_dwordx2 s[2:3], s[4:5], 0x18
	v_lshrrev_b32_e32 v1, 6, v0
	v_lshl_or_b32 v5, s6, 1, v1
	v_mov_b32_e32 v3, 0
	s_waitcnt lgkmcnt(0)
	v_cmp_lt_u64_e64 s[0:1], s[10:11], 2
	v_mov_b32_e32 v1, 0
	v_mov_b32_e32 v6, v3
	s_and_b64 vcc, exec, s[0:1]
	v_mov_b32_e32 v2, 0
	s_cbranch_vccnz .LBB0_8
; %bb.1:
	s_load_dwordx2 s[0:1], s[4:5], 0x10
	s_add_u32 s6, s2, 8
	s_addc_u32 s7, s3, 0
	v_mov_b32_e32 v1, 0
	v_mov_b32_e32 v2, 0
	s_waitcnt lgkmcnt(0)
	s_add_u32 s14, s0, 8
	s_addc_u32 s15, s1, 0
	s_mov_b64 s[16:17], 1
.LBB0_2:                                ; =>This Inner Loop Header: Depth=1
	s_load_dwordx2 s[18:19], s[14:15], 0x0
                                        ; implicit-def: $vgpr7_vgpr8
	s_waitcnt lgkmcnt(0)
	v_or_b32_e32 v4, s19, v6
	v_cmp_ne_u64_e32 vcc, 0, v[3:4]
	s_and_saveexec_b64 s[0:1], vcc
	s_xor_b64 s[20:21], exec, s[0:1]
	s_cbranch_execz .LBB0_4
; %bb.3:                                ;   in Loop: Header=BB0_2 Depth=1
	v_cvt_f32_u32_e32 v4, s18
	v_cvt_f32_u32_e32 v7, s19
	s_sub_u32 s0, 0, s18
	s_subb_u32 s1, 0, s19
	v_mac_f32_e32 v4, 0x4f800000, v7
	v_rcp_f32_e32 v4, v4
	v_mul_f32_e32 v4, 0x5f7ffffc, v4
	v_mul_f32_e32 v7, 0x2f800000, v4
	v_trunc_f32_e32 v7, v7
	v_mac_f32_e32 v4, 0xcf800000, v7
	v_cvt_u32_f32_e32 v7, v7
	v_cvt_u32_f32_e32 v4, v4
	v_mul_lo_u32 v8, s0, v7
	v_mul_hi_u32 v9, s0, v4
	v_mul_lo_u32 v11, s1, v4
	v_mul_lo_u32 v10, s0, v4
	v_add_u32_e32 v8, v9, v8
	v_add_u32_e32 v8, v8, v11
	v_mul_hi_u32 v9, v4, v10
	v_mul_lo_u32 v11, v4, v8
	v_mul_hi_u32 v13, v4, v8
	v_mul_hi_u32 v12, v7, v10
	v_mul_lo_u32 v10, v7, v10
	v_mul_hi_u32 v14, v7, v8
	v_add_co_u32_e32 v9, vcc, v9, v11
	v_addc_co_u32_e32 v11, vcc, 0, v13, vcc
	v_mul_lo_u32 v8, v7, v8
	v_add_co_u32_e32 v9, vcc, v9, v10
	v_addc_co_u32_e32 v9, vcc, v11, v12, vcc
	v_addc_co_u32_e32 v10, vcc, 0, v14, vcc
	v_add_co_u32_e32 v8, vcc, v9, v8
	v_addc_co_u32_e32 v9, vcc, 0, v10, vcc
	v_add_co_u32_e32 v4, vcc, v4, v8
	v_addc_co_u32_e32 v7, vcc, v7, v9, vcc
	v_mul_lo_u32 v8, s0, v7
	v_mul_hi_u32 v9, s0, v4
	v_mul_lo_u32 v10, s1, v4
	v_mul_lo_u32 v11, s0, v4
	v_add_u32_e32 v8, v9, v8
	v_add_u32_e32 v8, v8, v10
	v_mul_lo_u32 v12, v4, v8
	v_mul_hi_u32 v13, v4, v11
	v_mul_hi_u32 v14, v4, v8
	;; [unrolled: 1-line block ×3, first 2 shown]
	v_mul_lo_u32 v11, v7, v11
	v_mul_hi_u32 v9, v7, v8
	v_add_co_u32_e32 v12, vcc, v13, v12
	v_addc_co_u32_e32 v13, vcc, 0, v14, vcc
	v_mul_lo_u32 v8, v7, v8
	v_add_co_u32_e32 v11, vcc, v12, v11
	v_addc_co_u32_e32 v10, vcc, v13, v10, vcc
	v_addc_co_u32_e32 v9, vcc, 0, v9, vcc
	v_add_co_u32_e32 v8, vcc, v10, v8
	v_addc_co_u32_e32 v9, vcc, 0, v9, vcc
	v_add_co_u32_e32 v4, vcc, v4, v8
	v_addc_co_u32_e32 v9, vcc, v7, v9, vcc
	v_mad_u64_u32 v[7:8], s[0:1], v5, v9, 0
	v_mul_hi_u32 v10, v5, v4
	v_add_co_u32_e32 v11, vcc, v10, v7
	v_addc_co_u32_e32 v12, vcc, 0, v8, vcc
	v_mad_u64_u32 v[7:8], s[0:1], v6, v4, 0
	v_mad_u64_u32 v[9:10], s[0:1], v6, v9, 0
	v_add_co_u32_e32 v4, vcc, v11, v7
	v_addc_co_u32_e32 v4, vcc, v12, v8, vcc
	v_addc_co_u32_e32 v7, vcc, 0, v10, vcc
	v_add_co_u32_e32 v4, vcc, v4, v9
	v_addc_co_u32_e32 v9, vcc, 0, v7, vcc
	v_mul_lo_u32 v10, s19, v4
	v_mul_lo_u32 v11, s18, v9
	v_mad_u64_u32 v[7:8], s[0:1], s18, v4, 0
	v_add3_u32 v8, v8, v11, v10
	v_sub_u32_e32 v10, v6, v8
	v_mov_b32_e32 v11, s19
	v_sub_co_u32_e32 v7, vcc, v5, v7
	v_subb_co_u32_e64 v10, s[0:1], v10, v11, vcc
	v_subrev_co_u32_e64 v11, s[0:1], s18, v7
	v_subbrev_co_u32_e64 v10, s[0:1], 0, v10, s[0:1]
	v_cmp_le_u32_e64 s[0:1], s19, v10
	v_cndmask_b32_e64 v12, 0, -1, s[0:1]
	v_cmp_le_u32_e64 s[0:1], s18, v11
	v_cndmask_b32_e64 v11, 0, -1, s[0:1]
	v_cmp_eq_u32_e64 s[0:1], s19, v10
	v_cndmask_b32_e64 v10, v12, v11, s[0:1]
	v_add_co_u32_e64 v11, s[0:1], 2, v4
	v_addc_co_u32_e64 v12, s[0:1], 0, v9, s[0:1]
	v_add_co_u32_e64 v13, s[0:1], 1, v4
	v_addc_co_u32_e64 v14, s[0:1], 0, v9, s[0:1]
	v_subb_co_u32_e32 v8, vcc, v6, v8, vcc
	v_cmp_ne_u32_e64 s[0:1], 0, v10
	v_cmp_le_u32_e32 vcc, s19, v8
	v_cndmask_b32_e64 v10, v14, v12, s[0:1]
	v_cndmask_b32_e64 v12, 0, -1, vcc
	v_cmp_le_u32_e32 vcc, s18, v7
	v_cndmask_b32_e64 v7, 0, -1, vcc
	v_cmp_eq_u32_e32 vcc, s19, v8
	v_cndmask_b32_e32 v7, v12, v7, vcc
	v_cmp_ne_u32_e32 vcc, 0, v7
	v_cndmask_b32_e64 v7, v13, v11, s[0:1]
	v_cndmask_b32_e32 v8, v9, v10, vcc
	v_cndmask_b32_e32 v7, v4, v7, vcc
.LBB0_4:                                ;   in Loop: Header=BB0_2 Depth=1
	s_andn2_saveexec_b64 s[0:1], s[20:21]
	s_cbranch_execz .LBB0_6
; %bb.5:                                ;   in Loop: Header=BB0_2 Depth=1
	v_cvt_f32_u32_e32 v4, s18
	s_sub_i32 s20, 0, s18
	v_rcp_iflag_f32_e32 v4, v4
	v_mul_f32_e32 v4, 0x4f7ffffe, v4
	v_cvt_u32_f32_e32 v4, v4
	v_mul_lo_u32 v7, s20, v4
	v_mul_hi_u32 v7, v4, v7
	v_add_u32_e32 v4, v4, v7
	v_mul_hi_u32 v4, v5, v4
	v_mul_lo_u32 v7, v4, s18
	v_add_u32_e32 v8, 1, v4
	v_sub_u32_e32 v7, v5, v7
	v_subrev_u32_e32 v9, s18, v7
	v_cmp_le_u32_e32 vcc, s18, v7
	v_cndmask_b32_e32 v7, v7, v9, vcc
	v_cndmask_b32_e32 v4, v4, v8, vcc
	v_add_u32_e32 v8, 1, v4
	v_cmp_le_u32_e32 vcc, s18, v7
	v_cndmask_b32_e32 v7, v4, v8, vcc
	v_mov_b32_e32 v8, v3
.LBB0_6:                                ;   in Loop: Header=BB0_2 Depth=1
	s_or_b64 exec, exec, s[0:1]
	v_mul_lo_u32 v4, v8, s18
	v_mul_lo_u32 v11, v7, s19
	v_mad_u64_u32 v[9:10], s[0:1], v7, s18, 0
	s_load_dwordx2 s[0:1], s[6:7], 0x0
	s_add_u32 s16, s16, 1
	v_add3_u32 v4, v10, v11, v4
	v_sub_co_u32_e32 v5, vcc, v5, v9
	v_subb_co_u32_e32 v4, vcc, v6, v4, vcc
	s_waitcnt lgkmcnt(0)
	v_mul_lo_u32 v4, s0, v4
	v_mul_lo_u32 v6, s1, v5
	v_mad_u64_u32 v[1:2], s[0:1], s0, v5, v[1:2]
	s_addc_u32 s17, s17, 0
	s_add_u32 s6, s6, 8
	v_add3_u32 v2, v6, v2, v4
	v_mov_b32_e32 v4, s10
	v_mov_b32_e32 v5, s11
	s_addc_u32 s7, s7, 0
	v_cmp_ge_u64_e32 vcc, s[16:17], v[4:5]
	s_add_u32 s14, s14, 8
	s_addc_u32 s15, s15, 0
	s_cbranch_vccnz .LBB0_9
; %bb.7:                                ;   in Loop: Header=BB0_2 Depth=1
	v_mov_b32_e32 v5, v7
	v_mov_b32_e32 v6, v8
	s_branch .LBB0_2
.LBB0_8:
	v_mov_b32_e32 v8, v6
	v_mov_b32_e32 v7, v5
.LBB0_9:
	s_lshl_b64 s[0:1], s[10:11], 3
	s_add_u32 s0, s2, s0
	s_addc_u32 s1, s3, s1
	s_load_dwordx2 s[0:1], s[0:1], 0x0
	v_mov_b32_e32 v6, 0x281
	v_and_b32_e32 v65, 63, v0
	s_waitcnt lgkmcnt(0)
	v_mul_lo_u32 v4, s0, v8
	v_mul_lo_u32 v5, s1, v7
	v_mad_u64_u32 v[2:3], s[0:1], s0, v7, v[1:2]
	s_load_dwordx2 s[0:1], s[4:5], 0x20
	v_and_b32_e32 v1, 64, v0
	v_add3_u32 v3, v5, v3, v4
	v_cmp_ne_u32_e32 vcc, 0, v1
	v_cndmask_b32_e32 v1, 0, v6, vcc
	s_waitcnt lgkmcnt(0)
	v_cmp_gt_u64_e64 s[0:1], s[0:1], v[7:8]
	v_lshlrev_b64 v[67:68], 4, v[2:3]
	v_lshlrev_b32_e32 v33, 4, v1
	s_and_saveexec_b64 s[2:3], s[0:1]
	s_cbranch_execz .LBB0_13
; %bb.10:
	v_mov_b32_e32 v2, s13
	v_add_co_u32_e32 v3, vcc, s12, v67
	v_addc_co_u32_e32 v2, vcc, v2, v68, vcc
	v_lshlrev_b32_e32 v4, 4, v65
	v_add_co_u32_e32 v21, vcc, v3, v4
	v_addc_co_u32_e32 v22, vcc, 0, v2, vcc
	v_or_b32_e32 v23, 0x1000, v4
	v_add_co_u32_e32 v46, vcc, v3, v23
	global_load_dwordx4 v[5:8], v[21:22], off
	global_load_dwordx4 v[9:12], v[21:22], off offset:1024
	global_load_dwordx4 v[13:16], v[21:22], off offset:2048
	;; [unrolled: 1-line block ×3, first 2 shown]
	v_addc_co_u32_e32 v47, vcc, 0, v2, vcc
	v_or_b32_e32 v21, 0x1400, v4
	v_add_co_u32_e32 v48, vcc, v3, v21
	v_or_b32_e32 v22, 0x1800, v4
	v_addc_co_u32_e32 v49, vcc, 0, v2, vcc
	v_add_co_u32_e32 v50, vcc, v3, v22
	v_or_b32_e32 v23, 0x1c00, v4
	v_addc_co_u32_e32 v51, vcc, 0, v2, vcc
	;; [unrolled: 3-line block ×4, first 2 shown]
	v_add_co_u32_e32 v56, vcc, v3, v25
	v_addc_co_u32_e32 v57, vcc, 0, v2, vcc
	global_load_dwordx4 v[21:24], v[46:47], off
	global_load_dwordx4 v[25:28], v[48:49], off
	;; [unrolled: 1-line block ×6, first 2 shown]
	v_add3_u32 v4, 0, v33, v4
	v_cmp_eq_u32_e32 vcc, 63, v65
	s_waitcnt vmcnt(9)
	ds_write_b128 v4, v[5:8]
	s_waitcnt vmcnt(8)
	ds_write_b128 v4, v[9:12] offset:1024
	s_waitcnt vmcnt(7)
	ds_write_b128 v4, v[13:16] offset:2048
	;; [unrolled: 2-line block ×9, first 2 shown]
	s_and_saveexec_b64 s[4:5], vcc
	s_cbranch_execz .LBB0_12
; %bb.11:
	v_add_co_u32_e32 v5, vcc, 0x2000, v3
	v_addc_co_u32_e32 v6, vcc, 0, v2, vcc
	global_load_dwordx4 v[5:8], v[5:6], off offset:2048
	v_mov_b32_e32 v65, 63
	s_waitcnt vmcnt(0)
	ds_write_b128 v4, v[5:8] offset:9232
.LBB0_12:
	s_or_b64 exec, exec, s[4:5]
.LBB0_13:
	s_or_b64 exec, exec, s[2:3]
	v_lshl_add_u32 v69, v1, 4, 0
	v_lshlrev_b32_e32 v12, 4, v65
	v_add_u32_e32 v34, v69, v12
	s_waitcnt lgkmcnt(0)
	s_barrier
	v_sub_u32_e32 v11, v69, v12
	ds_read_b64 v[7:8], v34
	ds_read_b64 v[9:10], v11 offset:10240
	s_add_u32 s2, s8, 0x2780
	s_addc_u32 s3, s9, 0
	v_cmp_ne_u32_e32 vcc, 0, v65
                                        ; implicit-def: $vgpr5_vgpr6
	s_waitcnt lgkmcnt(0)
	v_add_f64 v[1:2], v[7:8], v[9:10]
	v_add_f64 v[3:4], v[7:8], -v[9:10]
	s_and_saveexec_b64 s[4:5], vcc
	s_xor_b64 s[4:5], exec, s[4:5]
	s_cbranch_execz .LBB0_15
; %bb.14:
	global_load_dwordx4 v[3:6], v12, s[2:3]
	ds_read_b64 v[1:2], v11 offset:10248
	ds_read_b64 v[13:14], v34 offset:8
	v_add_f64 v[15:16], v[7:8], v[9:10]
	v_add_f64 v[9:10], v[7:8], -v[9:10]
	v_mov_b32_e32 v66, 0
	s_waitcnt lgkmcnt(0)
	v_add_f64 v[17:18], v[1:2], v[13:14]
	v_add_f64 v[1:2], v[13:14], -v[1:2]
	s_waitcnt vmcnt(0)
	v_fma_f64 v[7:8], -v[9:10], v[5:6], v[15:16]
	v_fma_f64 v[13:14], v[17:18], v[5:6], -v[1:2]
	v_fma_f64 v[15:16], v[9:10], v[5:6], v[15:16]
	v_fma_f64 v[19:20], v[17:18], v[5:6], v[1:2]
	;; [unrolled: 1-line block ×4, first 2 shown]
	v_fma_f64 v[1:2], -v[17:18], v[3:4], v[15:16]
	v_fma_f64 v[3:4], v[9:10], v[3:4], v[19:20]
	ds_write_b128 v11, v[5:8] offset:10240
	v_mov_b32_e32 v5, v65
	v_mov_b32_e32 v6, v66
.LBB0_15:
	s_andn2_saveexec_b64 s[4:5], s[4:5]
	s_cbranch_execz .LBB0_17
; %bb.16:
	ds_read_b128 v[5:8], v69 offset:5120
	s_waitcnt lgkmcnt(0)
	v_add_f64 v[13:14], v[5:6], v[5:6]
	v_mul_f64 v[15:16], v[7:8], -2.0
	v_mov_b32_e32 v5, 0
	v_mov_b32_e32 v6, 0
	ds_write_b128 v69, v[13:16] offset:5120
.LBB0_17:
	s_or_b64 exec, exec, s[4:5]
	v_lshlrev_b64 v[5:6], 4, v[5:6]
	v_mov_b32_e32 v7, s3
	v_add_co_u32_e32 v9, vcc, s2, v5
	v_addc_co_u32_e32 v10, vcc, v7, v6, vcc
	global_load_dwordx4 v[5:8], v[9:10], off offset:1024
	global_load_dwordx4 v[13:16], v[9:10], off offset:2048
	ds_write_b128 v34, v[1:4]
	ds_read_b128 v[1:4], v34 offset:1024
	ds_read_b128 v[17:20], v11 offset:9216
	global_load_dwordx4 v[21:24], v[9:10], off offset:3072
	s_movk_i32 s6, 0x70
	s_mov_b32 s5, 0x3fe6a09e
	v_cmp_gt_u32_e32 vcc, 16, v65
	s_waitcnt lgkmcnt(0)
	v_add_f64 v[9:10], v[1:2], v[17:18]
	v_add_f64 v[25:26], v[19:20], v[3:4]
	v_add_f64 v[17:18], v[1:2], -v[17:18]
	v_add_f64 v[1:2], v[3:4], -v[19:20]
	s_waitcnt vmcnt(2)
	v_fma_f64 v[3:4], v[17:18], v[7:8], v[9:10]
	v_fma_f64 v[19:20], v[25:26], v[7:8], v[1:2]
	v_fma_f64 v[9:10], -v[17:18], v[7:8], v[9:10]
	v_fma_f64 v[27:28], v[25:26], v[7:8], -v[1:2]
	v_fma_f64 v[1:2], -v[25:26], v[5:6], v[3:4]
	v_fma_f64 v[3:4], v[17:18], v[5:6], v[19:20]
	v_fma_f64 v[7:8], v[25:26], v[5:6], v[9:10]
	v_fma_f64 v[9:10], v[17:18], v[5:6], v[27:28]
	ds_write_b128 v34, v[1:4] offset:1024
	ds_write_b128 v11, v[7:10] offset:9216
	v_or_b32_e32 v9, 0x1000, v12
	ds_read_b128 v[1:4], v34 offset:2048
	ds_read_b128 v[5:8], v11 offset:8192
	global_load_dwordx4 v[17:20], v9, s[2:3]
	v_add_u32_e32 v12, 0, v12
	v_add_u32_e32 v66, v12, v33
	v_mad_u32_u24 v36, v65, s6, v12
	s_waitcnt lgkmcnt(0)
	v_add_f64 v[9:10], v[1:2], v[5:6]
	v_add_f64 v[25:26], v[7:8], v[3:4]
	v_add_f64 v[27:28], v[1:2], -v[5:6]
	v_add_f64 v[1:2], v[3:4], -v[7:8]
	s_mov_b32 s2, 0x667f3bcd
	s_mov_b32 s3, 0xbfe6a09e
	;; [unrolled: 1-line block ×3, first 2 shown]
	v_add_u32_e32 v35, v36, v33
	s_waitcnt vmcnt(2)
	v_fma_f64 v[3:4], v[27:28], v[15:16], v[9:10]
	v_fma_f64 v[5:6], v[25:26], v[15:16], v[1:2]
	v_fma_f64 v[7:8], -v[27:28], v[15:16], v[9:10]
	v_fma_f64 v[9:10], v[25:26], v[15:16], -v[1:2]
	v_fma_f64 v[1:2], -v[25:26], v[13:14], v[3:4]
	v_fma_f64 v[3:4], v[27:28], v[13:14], v[5:6]
	v_fma_f64 v[5:6], v[25:26], v[13:14], v[7:8]
	;; [unrolled: 1-line block ×3, first 2 shown]
	ds_write_b128 v34, v[1:4] offset:2048
	ds_write_b128 v11, v[5:8] offset:8192
	ds_read_b128 v[1:4], v34 offset:3072
	ds_read_b128 v[5:8], v11 offset:7168
	s_waitcnt lgkmcnt(0)
	v_add_f64 v[9:10], v[1:2], v[5:6]
	v_add_f64 v[13:14], v[7:8], v[3:4]
	v_add_f64 v[15:16], v[1:2], -v[5:6]
	v_add_f64 v[1:2], v[3:4], -v[7:8]
	s_waitcnt vmcnt(1)
	v_fma_f64 v[3:4], v[15:16], v[23:24], v[9:10]
	v_fma_f64 v[5:6], v[13:14], v[23:24], v[1:2]
	v_fma_f64 v[7:8], -v[15:16], v[23:24], v[9:10]
	v_fma_f64 v[9:10], v[13:14], v[23:24], -v[1:2]
	v_fma_f64 v[1:2], -v[13:14], v[21:22], v[3:4]
	v_fma_f64 v[3:4], v[15:16], v[21:22], v[5:6]
	v_fma_f64 v[5:6], v[13:14], v[21:22], v[7:8]
	;; [unrolled: 1-line block ×3, first 2 shown]
	ds_write_b128 v34, v[1:4] offset:3072
	ds_write_b128 v11, v[5:8] offset:7168
	ds_read_b128 v[1:4], v34 offset:4096
	ds_read_b128 v[5:8], v11 offset:6144
	s_waitcnt lgkmcnt(0)
	v_add_f64 v[9:10], v[1:2], v[5:6]
	v_add_f64 v[13:14], v[7:8], v[3:4]
	v_add_f64 v[15:16], v[1:2], -v[5:6]
	v_add_f64 v[1:2], v[3:4], -v[7:8]
	s_waitcnt vmcnt(0)
	v_fma_f64 v[3:4], v[15:16], v[19:20], v[9:10]
	v_fma_f64 v[5:6], v[13:14], v[19:20], v[1:2]
	v_fma_f64 v[7:8], -v[15:16], v[19:20], v[9:10]
	v_fma_f64 v[9:10], v[13:14], v[19:20], -v[1:2]
	v_fma_f64 v[1:2], -v[13:14], v[17:18], v[3:4]
	v_fma_f64 v[3:4], v[15:16], v[17:18], v[5:6]
	v_fma_f64 v[5:6], v[13:14], v[17:18], v[7:8]
	;; [unrolled: 1-line block ×3, first 2 shown]
	ds_write_b128 v34, v[1:4] offset:4096
	ds_write_b128 v11, v[5:8] offset:6144
	s_waitcnt lgkmcnt(0)
	s_barrier
	s_barrier
	ds_read_b128 v[1:4], v34
	ds_read_b128 v[5:8], v66 offset:1024
	ds_read_b128 v[9:12], v66 offset:5120
	;; [unrolled: 1-line block ×15, first 2 shown]
	s_waitcnt lgkmcnt(13)
	v_add_f64 v[9:10], v[1:2], -v[9:10]
	v_add_f64 v[11:12], v[3:4], -v[11:12]
	s_waitcnt lgkmcnt(9)
	v_add_f64 v[25:26], v[17:18], -v[25:26]
	v_add_f64 v[27:28], v[19:20], -v[27:28]
	s_waitcnt lgkmcnt(5)
	v_add_f64 v[45:46], v[37:38], -v[45:46]
	v_add_f64 v[47:48], v[39:40], -v[47:48]
	s_waitcnt lgkmcnt(1)
	v_add_f64 v[61:62], v[53:54], -v[61:62]
	v_add_f64 v[63:64], v[55:56], -v[63:64]
	v_add_f64 v[13:14], v[5:6], -v[13:14]
	v_add_f64 v[15:16], v[7:8], -v[15:16]
	;; [unrolled: 1-line block ×6, first 2 shown]
	s_waitcnt lgkmcnt(0)
	v_add_f64 v[70:71], v[57:58], -v[70:71]
	v_add_f64 v[72:73], v[59:60], -v[72:73]
	v_fma_f64 v[74:75], v[1:2], 2.0, -v[9:10]
	v_fma_f64 v[76:77], v[3:4], 2.0, -v[11:12]
	;; [unrolled: 1-line block ×8, first 2 shown]
	v_add_f64 v[53:54], v[11:12], -v[25:26]
	v_add_f64 v[55:56], v[45:46], v[63:64]
	v_add_f64 v[61:62], v[47:48], -v[61:62]
	v_add_f64 v[63:64], v[9:10], v[27:28]
	v_fma_f64 v[78:79], v[5:6], 2.0, -v[13:14]
	v_fma_f64 v[80:81], v[7:8], 2.0, -v[15:16]
	v_fma_f64 v[5:6], v[21:22], 2.0, -v[29:30]
	v_fma_f64 v[7:8], v[23:24], 2.0, -v[31:32]
	v_fma_f64 v[21:22], v[41:42], 2.0, -v[49:50]
	v_fma_f64 v[23:24], v[43:44], 2.0, -v[51:52]
	v_fma_f64 v[41:42], v[57:58], 2.0, -v[70:71]
	v_fma_f64 v[43:44], v[59:60], 2.0, -v[72:73]
	v_add_f64 v[82:83], v[15:16], -v[29:30]
	v_add_f64 v[29:30], v[49:50], v[72:73]
	v_add_f64 v[57:58], v[51:52], -v[70:71]
	v_add_f64 v[70:71], v[13:14], v[31:32]
	v_fma_f64 v[45:46], v[45:46], 2.0, -v[55:56]
	v_fma_f64 v[31:32], v[61:62], s[4:5], v[53:54]
	v_fma_f64 v[59:60], v[55:56], s[4:5], v[63:64]
	v_fma_f64 v[47:48], v[47:48], 2.0, -v[61:62]
	v_fma_f64 v[9:10], v[9:10], 2.0, -v[63:64]
	;; [unrolled: 1-line block ×3, first 2 shown]
	v_add_f64 v[72:73], v[74:75], -v[1:2]
	v_add_f64 v[84:85], v[76:77], -v[3:4]
	;; [unrolled: 1-line block ×4, first 2 shown]
	v_fma_f64 v[86:87], v[49:50], 2.0, -v[29:30]
	v_fma_f64 v[49:50], v[57:58], s[4:5], v[82:83]
	v_fma_f64 v[88:89], v[29:30], s[4:5], v[70:71]
	v_fma_f64 v[90:91], v[51:52], 2.0, -v[57:58]
	v_fma_f64 v[25:26], v[13:14], 2.0, -v[70:71]
	;; [unrolled: 1-line block ×3, first 2 shown]
	v_add_f64 v[15:16], v[21:22], -v[41:42]
	v_add_f64 v[13:14], v[23:24], -v[43:44]
	;; [unrolled: 1-line block ×4, first 2 shown]
	v_fma_f64 v[3:4], v[55:56], s[2:3], v[31:32]
	v_fma_f64 v[1:2], v[61:62], s[4:5], v[59:60]
	;; [unrolled: 1-line block ×4, first 2 shown]
	v_fma_f64 v[55:56], v[74:75], 2.0, -v[72:73]
	v_fma_f64 v[59:60], v[76:77], 2.0, -v[84:85]
	;; [unrolled: 1-line block ×4, first 2 shown]
	v_add_f64 v[5:6], v[72:73], v[39:40]
	v_add_f64 v[7:8], v[84:85], -v[37:38]
	v_fma_f64 v[19:20], v[29:30], s[2:3], v[49:50]
	v_fma_f64 v[17:18], v[57:58], s[4:5], v[88:89]
	;; [unrolled: 1-line block ×4, first 2 shown]
	v_fma_f64 v[76:77], v[21:22], 2.0, -v[15:16]
	v_fma_f64 v[88:89], v[23:24], 2.0, -v[13:14]
	v_add_f64 v[13:14], v[92:93], v[13:14]
	v_add_f64 v[15:16], v[94:95], -v[15:16]
	v_fma_f64 v[29:30], v[78:79], 2.0, -v[92:93]
	v_fma_f64 v[31:32], v[80:81], 2.0, -v[94:95]
	v_fma_f64 v[37:38], v[47:48], s[4:5], v[41:42]
	v_fma_f64 v[39:40], v[45:46], s[2:3], v[43:44]
	v_add_f64 v[49:50], v[55:56], -v[51:52]
	v_add_f64 v[51:52], v[59:60], -v[61:62]
	s_barrier
	v_fma_f64 v[41:42], v[72:73], 2.0, -v[5:6]
	v_fma_f64 v[43:44], v[84:85], 2.0, -v[7:8]
	ds_write_b128 v35, v[5:8] offset:96
	v_fma_f64 v[45:46], v[63:64], 2.0, -v[1:2]
	v_fma_f64 v[47:48], v[53:54], 2.0, -v[3:4]
	ds_write_b128 v35, v[1:4] offset:112
	v_fma_f64 v[21:22], v[90:91], s[4:5], v[57:58]
	v_fma_f64 v[23:24], v[86:87], s[2:3], v[74:75]
	v_add_f64 v[5:6], v[29:30], -v[76:77]
	v_add_f64 v[7:8], v[31:32], -v[88:89]
	v_fma_f64 v[1:2], v[92:93], 2.0, -v[13:14]
	v_fma_f64 v[3:4], v[94:95], 2.0, -v[15:16]
	;; [unrolled: 1-line block ×8, first 2 shown]
	v_or_b32_e32 v70, 64, v65
	ds_write_b128 v35, v[41:44] offset:32
	ds_write_b128 v35, v[45:48] offset:48
	;; [unrolled: 1-line block ×4, first 2 shown]
	ds_write_b128 v35, v[53:56]
	ds_write_b128 v35, v[57:60] offset:16
	s_and_saveexec_b64 s[2:3], vcc
	s_cbranch_execz .LBB0_19
; %bb.18:
	v_fma_f64 v[31:32], v[31:32], 2.0, -v[7:8]
	v_fma_f64 v[29:30], v[29:30], 2.0, -v[5:6]
	;; [unrolled: 1-line block ×4, first 2 shown]
	v_lshlrev_b32_e32 v35, 7, v70
	v_add3_u32 v35, 0, v35, v33
	ds_write_b128 v35, v[1:4] offset:32
	ds_write_b128 v35, v[29:32]
	ds_write_b128 v35, v[25:28] offset:16
	ds_write_b128 v35, v[9:12] offset:48
	ds_write_b128 v35, v[5:8] offset:64
	ds_write_b128 v35, v[21:24] offset:80
	ds_write_b128 v35, v[13:16] offset:96
	ds_write_b128 v35, v[17:20] offset:112
.LBB0_19:
	s_or_b64 exec, exec, s[2:3]
	v_and_b32_e32 v35, 7, v0
	v_mul_u32_u24_e32 v0, 9, v35
	v_lshlrev_b32_e32 v0, 4, v0
	s_waitcnt lgkmcnt(0)
	s_barrier
	global_load_dwordx4 v[25:28], v0, s[8:9]
	global_load_dwordx4 v[29:32], v0, s[8:9] offset:16
	global_load_dwordx4 v[37:40], v0, s[8:9] offset:32
	;; [unrolled: 1-line block ×8, first 2 shown]
	v_mul_i32_i24_e32 v0, 0xffffff90, v65
	v_add3_u32 v0, v36, v0, v33
	ds_read_b128 v[71:74], v34
	ds_read_b128 v[75:78], v66 offset:5120
	ds_read_b128 v[79:82], v0 offset:1024
	;; [unrolled: 1-line block ×4, first 2 shown]
	s_mov_b32 s10, 0x134454ff
	s_mov_b32 s11, 0xbfee6f0e
	;; [unrolled: 1-line block ×12, first 2 shown]
	s_waitcnt vmcnt(8) lgkmcnt(2)
	v_mul_f64 v[91:92], v[81:82], v[27:28]
	v_mul_f64 v[27:28], v[79:80], v[27:28]
	s_waitcnt vmcnt(7) lgkmcnt(1)
	v_mul_f64 v[93:94], v[85:86], v[31:32]
	v_mul_f64 v[31:32], v[83:84], v[31:32]
	s_waitcnt vmcnt(4)
	v_mul_f64 v[95:96], v[77:78], v[47:48]
	v_mul_f64 v[47:48], v[75:76], v[47:48]
	v_fma_f64 v[79:80], v[79:80], v[25:26], v[91:92]
	v_fma_f64 v[81:82], v[81:82], v[25:26], -v[27:28]
	ds_read_b128 v[25:28], v0 offset:4096
	s_waitcnt lgkmcnt(1)
	v_mul_f64 v[91:92], v[89:90], v[39:40]
	v_mul_f64 v[39:40], v[87:88], v[39:40]
	v_fma_f64 v[83:84], v[83:84], v[29:30], v[93:94]
	v_fma_f64 v[85:86], v[85:86], v[29:30], -v[31:32]
	s_waitcnt lgkmcnt(0)
	v_mul_f64 v[93:94], v[27:28], v[43:44]
	v_mul_f64 v[43:44], v[25:26], v[43:44]
	ds_read_b128 v[29:32], v66 offset:6144
	v_fma_f64 v[75:76], v[75:76], v[45:46], v[95:96]
	v_fma_f64 v[87:88], v[87:88], v[37:38], v[91:92]
	v_fma_f64 v[89:90], v[89:90], v[37:38], -v[39:40]
	ds_read_b128 v[36:39], v0 offset:7168
	v_fma_f64 v[91:92], v[25:26], v[41:42], v[93:94]
	v_fma_f64 v[93:94], v[27:28], v[41:42], -v[43:44]
	ds_read_b128 v[25:28], v0 offset:8192
	ds_read_b128 v[40:43], v0 offset:9216
	s_waitcnt vmcnt(3) lgkmcnt(3)
	v_mul_f64 v[97:98], v[31:32], v[51:52]
	v_mul_f64 v[51:52], v[29:30], v[51:52]
	v_fma_f64 v[44:45], v[77:78], v[45:46], -v[47:48]
	s_waitcnt vmcnt(1) lgkmcnt(1)
	v_mul_f64 v[77:78], v[25:26], v[59:60]
	v_mul_f64 v[46:47], v[38:39], v[55:56]
	v_mul_f64 v[55:56], v[36:37], v[55:56]
	s_waitcnt vmcnt(0) lgkmcnt(0)
	s_barrier
	v_fma_f64 v[29:30], v[29:30], v[49:50], v[97:98]
	v_fma_f64 v[31:32], v[31:32], v[49:50], -v[51:52]
	v_mul_f64 v[48:49], v[27:28], v[59:60]
	v_mul_f64 v[50:51], v[42:43], v[63:64]
	;; [unrolled: 1-line block ×3, first 2 shown]
	v_fma_f64 v[27:28], v[27:28], v[57:58], -v[77:78]
	v_fma_f64 v[36:37], v[36:37], v[53:54], v[46:47]
	v_add_f64 v[46:47], v[71:72], v[83:84]
	v_fma_f64 v[38:39], v[38:39], v[53:54], -v[55:56]
	v_add_f64 v[52:53], v[93:94], -v[31:32]
	v_fma_f64 v[25:26], v[25:26], v[57:58], v[48:49]
	v_fma_f64 v[40:41], v[40:41], v[61:62], v[50:51]
	v_fma_f64 v[42:43], v[42:43], v[61:62], -v[59:60]
	v_add_f64 v[48:49], v[91:92], v[29:30]
	v_add_f64 v[62:63], v[93:94], v[31:32]
	;; [unrolled: 1-line block ×3, first 2 shown]
	v_add_f64 v[50:51], v[85:86], -v[27:28]
	v_add_f64 v[97:98], v[73:74], v[85:86]
	v_add_f64 v[58:59], v[83:84], v[25:26]
	;; [unrolled: 1-line block ×3, first 2 shown]
	v_add_f64 v[54:55], v[83:84], -v[91:92]
	v_fma_f64 v[48:49], v[48:49], -0.5, v[71:72]
	v_fma_f64 v[62:63], v[62:63], -0.5, v[73:74]
	v_add_f64 v[56:57], v[25:26], -v[29:30]
	v_add_f64 v[60:61], v[91:92], -v[83:84]
	;; [unrolled: 1-line block ×3, first 2 shown]
	v_fma_f64 v[58:59], v[58:59], -0.5, v[71:72]
	v_fma_f64 v[71:72], v[77:78], -0.5, v[73:74]
	v_add_f64 v[73:74], v[85:86], -v[93:94]
	v_add_f64 v[77:78], v[27:28], -v[31:32]
	;; [unrolled: 1-line block ×5, first 2 shown]
	v_add_f64 v[93:94], v[97:98], v[93:94]
	v_add_f64 v[29:30], v[46:47], v[29:30]
	v_fma_f64 v[46:47], v[52:53], s[4:5], v[58:59]
	v_fma_f64 v[58:59], v[52:53], s[10:11], v[58:59]
	v_add_f64 v[73:74], v[73:74], v[77:78]
	v_fma_f64 v[77:78], v[50:51], s[10:11], v[48:49]
	v_fma_f64 v[48:49], v[50:51], s[4:5], v[48:49]
	v_add_f64 v[91:92], v[31:32], -v[27:28]
	v_add_f64 v[54:55], v[54:55], v[56:57]
	v_add_f64 v[60:61], v[60:61], v[95:96]
	;; [unrolled: 1-line block ×3, first 2 shown]
	v_fma_f64 v[93:94], v[83:84], s[4:5], v[62:63]
	v_fma_f64 v[62:63], v[83:84], s[10:11], v[62:63]
	;; [unrolled: 1-line block ×7, first 2 shown]
	v_add_f64 v[56:57], v[79:80], v[87:88]
	v_add_f64 v[95:96], v[75:76], v[36:37]
	v_fma_f64 v[71:72], v[99:100], s[4:5], v[71:72]
	v_fma_f64 v[93:94], v[99:100], s[14:15], v[93:94]
	;; [unrolled: 1-line block ×3, first 2 shown]
	v_add_f64 v[27:28], v[31:32], v[27:28]
	v_fma_f64 v[31:32], v[54:55], s[2:3], v[77:78]
	v_fma_f64 v[77:78], v[54:55], s[2:3], v[48:49]
	;; [unrolled: 1-line block ×3, first 2 shown]
	v_add_f64 v[50:51], v[44:45], v[38:39]
	v_fma_f64 v[54:55], v[83:84], s[14:15], v[58:59]
	v_add_f64 v[58:59], v[85:86], v[91:92]
	v_add_f64 v[56:57], v[56:57], v[75:76]
	v_add_f64 v[97:98], v[89:90], -v[42:43]
	v_fma_f64 v[95:96], v[95:96], -0.5, v[79:80]
	v_fma_f64 v[101:102], v[60:61], s[2:3], v[46:47]
	v_fma_f64 v[93:94], v[73:74], s[2:3], v[93:94]
	;; [unrolled: 1-line block ×3, first 2 shown]
	v_add_f64 v[48:49], v[87:88], v[40:41]
	v_fma_f64 v[60:61], v[83:84], s[6:7], v[71:72]
	v_fma_f64 v[50:51], v[50:51], -0.5, v[81:82]
	v_add_f64 v[62:63], v[87:88], -v[40:41]
	v_fma_f64 v[73:74], v[58:59], s[2:3], v[54:55]
	v_add_f64 v[54:55], v[89:90], v[42:43]
	v_add_f64 v[56:57], v[56:57], v[36:37]
	v_add_f64 v[52:53], v[44:45], -v[38:39]
	v_add_f64 v[99:100], v[87:88], -v[75:76]
	v_add_f64 v[25:26], v[29:30], v[25:26]
	v_fma_f64 v[29:30], v[97:98], s[10:11], v[95:96]
	v_fma_f64 v[48:49], v[48:49], -0.5, v[79:80]
	v_fma_f64 v[71:72], v[97:98], s[4:5], v[95:96]
	v_fma_f64 v[79:80], v[58:59], s[2:3], v[60:61]
	;; [unrolled: 1-line block ×3, first 2 shown]
	v_add_f64 v[83:84], v[75:76], -v[36:37]
	v_add_f64 v[85:86], v[89:90], -v[44:45]
	;; [unrolled: 1-line block ×4, first 2 shown]
	v_fma_f64 v[54:55], v[54:55], -0.5, v[81:82]
	v_add_f64 v[46:47], v[40:41], -v[36:37]
	v_add_f64 v[56:57], v[56:57], v[40:41]
	v_add_f64 v[36:37], v[36:37], -v[40:41]
	v_add_f64 v[40:41], v[81:82], v[89:90]
	v_fma_f64 v[29:30], v[52:53], s[6:7], v[29:30]
	v_fma_f64 v[58:59], v[52:53], s[4:5], v[48:49]
	;; [unrolled: 1-line block ×5, first 2 shown]
	v_add_f64 v[60:61], v[85:86], v[87:88]
	v_fma_f64 v[81:82], v[83:84], s[10:11], v[54:55]
	v_add_f64 v[85:86], v[44:45], -v[89:90]
	v_add_f64 v[87:88], v[38:39], -v[42:43]
	v_fma_f64 v[54:55], v[83:84], s[4:5], v[54:55]
	v_add_f64 v[40:41], v[40:41], v[44:45]
	v_fma_f64 v[44:45], v[62:63], s[10:11], v[50:51]
	v_add_f64 v[36:37], v[75:76], v[36:37]
	v_fma_f64 v[50:51], v[60:61], s[2:3], v[52:53]
	v_fma_f64 v[52:53], v[62:63], s[14:15], v[81:82]
	v_add_f64 v[46:47], v[99:100], v[46:47]
	v_add_f64 v[75:76], v[85:86], v[87:88]
	v_fma_f64 v[54:55], v[62:63], s[6:7], v[54:55]
	v_add_f64 v[38:39], v[40:41], v[38:39]
	v_fma_f64 v[40:41], v[83:84], s[6:7], v[44:45]
	v_fma_f64 v[58:59], v[97:98], s[6:7], v[58:59]
	;; [unrolled: 1-line block ×3, first 2 shown]
	v_lshrrev_b32_e32 v64, 3, v65
	v_fma_f64 v[29:30], v[46:47], s[2:3], v[29:30]
	v_fma_f64 v[52:53], v[75:76], s[2:3], v[52:53]
	;; [unrolled: 1-line block ×3, first 2 shown]
	v_add_f64 v[62:63], v[38:39], v[42:43]
	v_fma_f64 v[38:39], v[60:61], s[2:3], v[40:41]
	v_fma_f64 v[44:45], v[46:47], s[2:3], v[71:72]
	;; [unrolled: 1-line block ×3, first 2 shown]
	v_mul_f64 v[58:59], v[50:51], s[6:7]
	v_mul_f64 v[50:51], v[50:51], s[16:17]
	;; [unrolled: 1-line block ×4, first 2 shown]
	s_mov_b32 s11, 0xbfd3c6ef
	s_mov_b32 s10, s2
	v_mul_f64 v[52:53], v[52:53], s[2:3]
	v_fma_f64 v[48:49], v[36:37], s[2:3], v[48:49]
	v_mul_f64 v[60:61], v[38:39], s[6:7]
	s_mov_b32 s7, 0xbfe9e377
	s_mov_b32 s6, s16
	v_mul_f64 v[54:55], v[54:55], s[10:11]
	v_mul_f64 v[38:39], v[38:39], s[6:7]
	v_fma_f64 v[58:59], v[29:30], s[16:17], v[58:59]
	v_fma_f64 v[83:84], v[29:30], s[14:15], v[50:51]
	v_fma_f64 v[71:72], v[46:47], s[2:3], v[40:41]
	v_fma_f64 v[85:86], v[46:47], s[4:5], v[52:53]
	v_fma_f64 v[75:76], v[48:49], s[10:11], v[42:43]
	v_fma_f64 v[81:82], v[44:45], s[6:7], v[60:61]
	v_fma_f64 v[87:88], v[48:49], s[4:5], v[54:55]
	v_fma_f64 v[89:90], v[44:45], s[14:15], v[38:39]
	v_add_f64 v[36:37], v[25:26], v[56:57]
	v_add_f64 v[38:39], v[27:28], v[62:63]
	;; [unrolled: 1-line block ×10, first 2 shown]
	v_mul_u32_u24_e32 v64, 0x50, v64
	v_add_f64 v[56:57], v[25:26], -v[56:57]
	v_add_f64 v[60:61], v[31:32], -v[58:59]
	;; [unrolled: 1-line block ×3, first 2 shown]
	v_or_b32_e32 v35, v64, v35
	v_add_f64 v[62:63], v[93:94], -v[83:84]
	v_lshlrev_b32_e32 v35, 4, v35
	v_add_f64 v[71:72], v[101:102], -v[71:72]
	v_add_f64 v[73:74], v[73:74], -v[85:86]
	v_add3_u32 v33, 0, v35, v33
	v_add_f64 v[29:30], v[103:104], -v[75:76]
	v_add_f64 v[25:26], v[77:78], -v[81:82]
	;; [unrolled: 1-line block ×4, first 2 shown]
	ds_write_b128 v33, v[36:39]
	ds_write_b128 v33, v[40:43] offset:128
	ds_write_b128 v33, v[44:47] offset:256
	;; [unrolled: 1-line block ×9, first 2 shown]
	s_waitcnt lgkmcnt(0)
	s_barrier
	ds_read_b128 v[33:36], v34
	ds_read_b128 v[61:64], v66 offset:1280
	ds_read_b128 v[57:60], v66 offset:2560
	;; [unrolled: 1-line block ×7, first 2 shown]
	s_movk_i32 s4, 0x50
	s_and_saveexec_b64 s[2:3], vcc
	s_cbranch_execz .LBB0_21
; %bb.20:
	ds_read_b128 v[25:28], v66 offset:2304
	ds_read_b128 v[1:4], v66 offset:3584
	;; [unrolled: 1-line block ×8, first 2 shown]
.LBB0_21:
	s_or_b64 exec, exec, s[2:3]
	v_mul_u32_u24_e32 v71, 7, v65
	v_lshlrev_b32_e32 v99, 4, v71
	global_load_dwordx4 v[71:74], v99, s[8:9] offset:1152
	global_load_dwordx4 v[75:78], v99, s[8:9] offset:1168
	global_load_dwordx4 v[79:82], v99, s[8:9] offset:1184
	global_load_dwordx4 v[83:86], v99, s[8:9] offset:1200
	global_load_dwordx4 v[87:90], v99, s[8:9] offset:1216
	global_load_dwordx4 v[91:94], v99, s[8:9] offset:1232
	global_load_dwordx4 v[95:98], v99, s[8:9] offset:1248
	v_cmp_gt_u32_e64 s[2:3], s4, v70
	s_mov_b32 s4, 0x667f3bcd
	s_mov_b32 s5, 0xbfe6a09e
	;; [unrolled: 1-line block ×4, first 2 shown]
	s_waitcnt vmcnt(0) lgkmcnt(0)
	s_barrier
	v_mul_f64 v[99:100], v[63:64], v[73:74]
	v_mul_f64 v[73:74], v[61:62], v[73:74]
	;; [unrolled: 1-line block ×14, first 2 shown]
	v_fma_f64 v[61:62], v[61:62], v[71:72], v[99:100]
	v_fma_f64 v[63:64], v[63:64], v[71:72], -v[73:74]
	v_fma_f64 v[57:58], v[57:58], v[75:76], v[101:102]
	v_fma_f64 v[59:60], v[59:60], v[75:76], -v[77:78]
	;; [unrolled: 2-line block ×7, first 2 shown]
	v_add_f64 v[45:46], v[33:34], -v[45:46]
	v_add_f64 v[47:48], v[35:36], -v[47:48]
	;; [unrolled: 1-line block ×8, first 2 shown]
	v_fma_f64 v[33:34], v[33:34], 2.0, -v[45:46]
	v_fma_f64 v[35:36], v[35:36], 2.0, -v[47:48]
	;; [unrolled: 1-line block ×6, first 2 shown]
	v_add_f64 v[71:72], v[45:46], v[51:52]
	v_add_f64 v[73:74], v[47:48], -v[49:50]
	v_fma_f64 v[49:50], v[53:54], 2.0, -v[41:42]
	v_fma_f64 v[51:52], v[55:56], 2.0, -v[43:44]
	v_add_f64 v[43:44], v[37:38], v[43:44]
	v_add_f64 v[41:42], v[39:40], -v[41:42]
	v_add_f64 v[53:54], v[33:34], -v[57:58]
	;; [unrolled: 1-line block ×3, first 2 shown]
	v_fma_f64 v[75:76], v[45:46], 2.0, -v[71:72]
	v_fma_f64 v[77:78], v[47:48], 2.0, -v[73:74]
	v_add_f64 v[45:46], v[61:62], -v[49:50]
	v_add_f64 v[47:48], v[63:64], -v[51:52]
	v_fma_f64 v[49:50], v[37:38], 2.0, -v[43:44]
	v_fma_f64 v[51:52], v[39:40], 2.0, -v[41:42]
	v_fma_f64 v[37:38], v[43:44], s[6:7], v[71:72]
	v_fma_f64 v[39:40], v[41:42], s[6:7], v[73:74]
	v_fma_f64 v[57:58], v[33:34], 2.0, -v[53:54]
	v_fma_f64 v[59:60], v[35:36], 2.0, -v[55:56]
	;; [unrolled: 1-line block ×4, first 2 shown]
	v_fma_f64 v[79:80], v[49:50], s[4:5], v[75:76]
	v_fma_f64 v[81:82], v[51:52], s[4:5], v[77:78]
	v_add_f64 v[33:34], v[53:54], v[47:48]
	v_add_f64 v[35:36], v[55:56], -v[45:46]
	v_fma_f64 v[37:38], v[41:42], s[6:7], v[37:38]
	v_fma_f64 v[39:40], v[43:44], s[4:5], v[39:40]
	v_add_f64 v[41:42], v[57:58], -v[61:62]
	v_add_f64 v[43:44], v[59:60], -v[63:64]
	v_fma_f64 v[45:46], v[51:52], s[6:7], v[79:80]
	v_fma_f64 v[47:48], v[49:50], s[4:5], v[81:82]
	v_fma_f64 v[49:50], v[53:54], 2.0, -v[33:34]
	v_fma_f64 v[51:52], v[55:56], 2.0, -v[35:36]
	v_fma_f64 v[53:54], v[71:72], 2.0, -v[37:38]
	v_fma_f64 v[55:56], v[73:74], 2.0, -v[39:40]
	v_fma_f64 v[57:58], v[57:58], 2.0, -v[41:42]
	v_fma_f64 v[59:60], v[59:60], 2.0, -v[43:44]
	v_fma_f64 v[61:62], v[75:76], 2.0, -v[45:46]
	v_fma_f64 v[63:64], v[77:78], 2.0, -v[47:48]
	ds_write_b128 v66, v[33:36] offset:7680
	ds_write_b128 v66, v[49:52] offset:2560
	;; [unrolled: 1-line block ×5, first 2 shown]
	ds_write_b128 v66, v[57:60]
	ds_write_b128 v66, v[61:64] offset:1280
	ds_write_b128 v66, v[37:40] offset:8960
	s_and_saveexec_b64 s[10:11], vcc
	s_cbranch_execz .LBB0_23
; %bb.22:
	v_add_u32_e32 v33, -16, v65
	v_cndmask_b32_e64 v33, v33, v70, s[2:3]
	v_mul_i32_i24_e32 v33, 7, v33
	v_mov_b32_e32 v34, 0
	v_lshlrev_b64 v[33:34], 4, v[33:34]
	v_mov_b32_e32 v35, s9
	v_add_co_u32_e32 v61, vcc, s8, v33
	v_addc_co_u32_e32 v62, vcc, v35, v34, vcc
	global_load_dwordx4 v[33:36], v[61:62], off offset:1200
	global_load_dwordx4 v[37:40], v[61:62], off offset:1168
	;; [unrolled: 1-line block ×7, first 2 shown]
	s_waitcnt vmcnt(6)
	v_mul_f64 v[61:62], v[5:6], v[35:36]
	s_waitcnt vmcnt(5)
	v_mul_f64 v[63:64], v[3:4], v[39:40]
	;; [unrolled: 2-line block ×7, first 2 shown]
	v_mul_f64 v[47:48], v[27:28], v[47:48]
	v_mul_f64 v[51:52], v[23:24], v[51:52]
	;; [unrolled: 1-line block ×7, first 2 shown]
	v_fma_f64 v[7:8], v[7:8], v[33:34], -v[61:62]
	v_fma_f64 v[1:2], v[1:2], v[37:38], v[63:64]
	v_fma_f64 v[13:14], v[13:14], v[41:42], v[70:71]
	v_fma_f64 v[27:28], v[27:28], v[45:46], -v[72:73]
	v_fma_f64 v[23:24], v[23:24], v[49:50], -v[74:75]
	v_fma_f64 v[9:10], v[9:10], v[53:54], v[76:77]
	v_fma_f64 v[17:18], v[17:18], v[57:58], v[78:79]
	;; [unrolled: 1-line block ×4, first 2 shown]
	v_fma_f64 v[11:12], v[11:12], v[53:54], -v[55:56]
	v_fma_f64 v[3:4], v[3:4], v[37:38], -v[39:40]
	;; [unrolled: 1-line block ×4, first 2 shown]
	v_fma_f64 v[5:6], v[5:6], v[33:34], v[35:36]
	v_add_f64 v[7:8], v[31:32], -v[7:8]
	v_add_f64 v[13:14], v[1:2], -v[13:14]
	;; [unrolled: 1-line block ×8, first 2 shown]
	v_fma_f64 v[31:32], v[31:32], 2.0, -v[7:8]
	v_add_f64 v[33:34], v[7:8], -v[13:14]
	v_fma_f64 v[27:28], v[27:28], 2.0, -v[23:24]
	v_add_f64 v[35:36], v[23:24], -v[17:18]
	v_fma_f64 v[25:26], v[25:26], 2.0, -v[21:22]
	v_fma_f64 v[3:4], v[3:4], 2.0, -v[15:16]
	;; [unrolled: 1-line block ×6, first 2 shown]
	v_add_f64 v[13:14], v[21:22], v[19:20]
	v_add_f64 v[37:38], v[5:6], v[15:16]
	v_fma_f64 v[39:40], v[7:8], 2.0, -v[33:34]
	v_add_f64 v[29:30], v[31:32], -v[3:4]
	v_fma_f64 v[19:20], v[23:24], 2.0, -v[35:36]
	v_add_f64 v[7:8], v[25:26], -v[9:10]
	v_add_f64 v[23:24], v[27:28], -v[11:12]
	;; [unrolled: 1-line block ×3, first 2 shown]
	v_fma_f64 v[1:2], v[21:22], 2.0, -v[13:14]
	v_fma_f64 v[21:22], v[5:6], 2.0, -v[37:38]
	v_fma_f64 v[3:4], v[35:36], s[6:7], v[33:34]
	v_fma_f64 v[31:32], v[31:32], 2.0, -v[29:30]
	v_fma_f64 v[5:6], v[19:20], s[4:5], v[39:40]
	v_fma_f64 v[25:26], v[25:26], 2.0, -v[7:8]
	v_fma_f64 v[9:10], v[27:28], 2.0, -v[23:24]
	;; [unrolled: 1-line block ×3, first 2 shown]
	v_fma_f64 v[43:44], v[13:14], s[6:7], v[37:38]
	v_fma_f64 v[27:28], v[1:2], s[4:5], v[21:22]
	;; [unrolled: 1-line block ×3, first 2 shown]
	v_add_f64 v[7:8], v[29:30], -v[7:8]
	v_fma_f64 v[11:12], v[1:2], s[4:5], v[5:6]
	v_add_f64 v[5:6], v[41:42], v[23:24]
	v_add_f64 v[15:16], v[31:32], -v[9:10]
	v_add_f64 v[13:14], v[17:18], -v[25:26]
	v_fma_f64 v[1:2], v[35:36], s[6:7], v[43:44]
	v_fma_f64 v[9:10], v[19:20], s[6:7], v[27:28]
	v_fma_f64 v[19:20], v[33:34], 2.0, -v[3:4]
	v_fma_f64 v[23:24], v[29:30], 2.0, -v[7:8]
	;; [unrolled: 1-line block ×8, first 2 shown]
	ds_write_b128 v0, v[29:32] offset:1024
	ds_write_b128 v66, v[25:28] offset:2304
	;; [unrolled: 1-line block ×8, first 2 shown]
.LBB0_23:
	s_or_b64 exec, exec, s[10:11]
	s_waitcnt lgkmcnt(0)
	s_barrier
	s_and_saveexec_b64 s[2:3], s[0:1]
	s_cbranch_execz .LBB0_25
; %bb.24:
	v_lshl_add_u32 v10, v65, 4, v69
	v_mov_b32_e32 v66, 0
	ds_read_b128 v[0:3], v10
	v_mov_b32_e32 v4, s13
	v_add_co_u32_e32 v11, vcc, s12, v67
	v_addc_co_u32_e32 v12, vcc, v4, v68, vcc
	v_lshlrev_b64 v[4:5], 4, v[65:66]
	v_add_co_u32_e32 v8, vcc, v11, v4
	v_addc_co_u32_e32 v9, vcc, v12, v5, vcc
	ds_read_b128 v[4:7], v10 offset:1024
	s_waitcnt lgkmcnt(1)
	global_store_dwordx4 v[8:9], v[0:3], off
	s_nop 0
	v_add_u32_e32 v0, 64, v65
	v_mov_b32_e32 v1, v66
	v_lshlrev_b64 v[0:1], 4, v[0:1]
	v_add_co_u32_e32 v0, vcc, v11, v0
	v_addc_co_u32_e32 v1, vcc, v12, v1, vcc
	s_waitcnt lgkmcnt(0)
	global_store_dwordx4 v[0:1], v[4:7], off
	ds_read_b128 v[0:3], v10 offset:2048
	v_add_u32_e32 v4, 0x80, v65
	v_mov_b32_e32 v5, v66
	v_lshlrev_b64 v[4:5], 4, v[4:5]
	v_add_co_u32_e32 v8, vcc, v11, v4
	v_addc_co_u32_e32 v9, vcc, v12, v5, vcc
	ds_read_b128 v[4:7], v10 offset:3072
	s_waitcnt lgkmcnt(1)
	global_store_dwordx4 v[8:9], v[0:3], off
	s_nop 0
	v_add_u32_e32 v0, 0xc0, v65
	v_mov_b32_e32 v1, v66
	v_lshlrev_b64 v[0:1], 4, v[0:1]
	v_add_co_u32_e32 v0, vcc, v11, v0
	v_addc_co_u32_e32 v1, vcc, v12, v1, vcc
	s_waitcnt lgkmcnt(0)
	global_store_dwordx4 v[0:1], v[4:7], off
	ds_read_b128 v[0:3], v10 offset:4096
	v_add_u32_e32 v4, 0x100, v65
	v_mov_b32_e32 v5, v66
	;; [unrolled: 17-line block ×4, first 2 shown]
	v_lshlrev_b64 v[4:5], 4, v[4:5]
	v_add_u32_e32 v65, 0x240, v65
	v_add_co_u32_e32 v8, vcc, v11, v4
	v_addc_co_u32_e32 v9, vcc, v12, v5, vcc
	ds_read_b128 v[4:7], v10 offset:9216
	s_waitcnt lgkmcnt(1)
	global_store_dwordx4 v[8:9], v[0:3], off
	s_nop 0
	v_lshlrev_b64 v[0:1], 4, v[65:66]
	v_add_co_u32_e32 v0, vcc, v11, v0
	v_addc_co_u32_e32 v1, vcc, v12, v1, vcc
	s_waitcnt lgkmcnt(0)
	global_store_dwordx4 v[0:1], v[4:7], off
.LBB0_25:
	s_endpgm
	.section	.rodata,"a",@progbits
	.p2align	6, 0x0
	.amdhsa_kernel fft_rtc_back_len640_factors_8_10_8_wgs_128_tpt_64_halfLds_dp_ip_CI_unitstride_sbrr_C2R_dirReg
		.amdhsa_group_segment_fixed_size 0
		.amdhsa_private_segment_fixed_size 0
		.amdhsa_kernarg_size 88
		.amdhsa_user_sgpr_count 6
		.amdhsa_user_sgpr_private_segment_buffer 1
		.amdhsa_user_sgpr_dispatch_ptr 0
		.amdhsa_user_sgpr_queue_ptr 0
		.amdhsa_user_sgpr_kernarg_segment_ptr 1
		.amdhsa_user_sgpr_dispatch_id 0
		.amdhsa_user_sgpr_flat_scratch_init 0
		.amdhsa_user_sgpr_private_segment_size 0
		.amdhsa_uses_dynamic_stack 0
		.amdhsa_system_sgpr_private_segment_wavefront_offset 0
		.amdhsa_system_sgpr_workgroup_id_x 1
		.amdhsa_system_sgpr_workgroup_id_y 0
		.amdhsa_system_sgpr_workgroup_id_z 0
		.amdhsa_system_sgpr_workgroup_info 0
		.amdhsa_system_vgpr_workitem_id 0
		.amdhsa_next_free_vgpr 113
		.amdhsa_next_free_sgpr 22
		.amdhsa_reserve_vcc 1
		.amdhsa_reserve_flat_scratch 0
		.amdhsa_float_round_mode_32 0
		.amdhsa_float_round_mode_16_64 0
		.amdhsa_float_denorm_mode_32 3
		.amdhsa_float_denorm_mode_16_64 3
		.amdhsa_dx10_clamp 1
		.amdhsa_ieee_mode 1
		.amdhsa_fp16_overflow 0
		.amdhsa_exception_fp_ieee_invalid_op 0
		.amdhsa_exception_fp_denorm_src 0
		.amdhsa_exception_fp_ieee_div_zero 0
		.amdhsa_exception_fp_ieee_overflow 0
		.amdhsa_exception_fp_ieee_underflow 0
		.amdhsa_exception_fp_ieee_inexact 0
		.amdhsa_exception_int_div_zero 0
	.end_amdhsa_kernel
	.text
.Lfunc_end0:
	.size	fft_rtc_back_len640_factors_8_10_8_wgs_128_tpt_64_halfLds_dp_ip_CI_unitstride_sbrr_C2R_dirReg, .Lfunc_end0-fft_rtc_back_len640_factors_8_10_8_wgs_128_tpt_64_halfLds_dp_ip_CI_unitstride_sbrr_C2R_dirReg
                                        ; -- End function
	.section	.AMDGPU.csdata,"",@progbits
; Kernel info:
; codeLenInByte = 7872
; NumSgprs: 26
; NumVgprs: 113
; ScratchSize: 0
; MemoryBound: 0
; FloatMode: 240
; IeeeMode: 1
; LDSByteSize: 0 bytes/workgroup (compile time only)
; SGPRBlocks: 3
; VGPRBlocks: 28
; NumSGPRsForWavesPerEU: 26
; NumVGPRsForWavesPerEU: 113
; Occupancy: 2
; WaveLimiterHint : 1
; COMPUTE_PGM_RSRC2:SCRATCH_EN: 0
; COMPUTE_PGM_RSRC2:USER_SGPR: 6
; COMPUTE_PGM_RSRC2:TRAP_HANDLER: 0
; COMPUTE_PGM_RSRC2:TGID_X_EN: 1
; COMPUTE_PGM_RSRC2:TGID_Y_EN: 0
; COMPUTE_PGM_RSRC2:TGID_Z_EN: 0
; COMPUTE_PGM_RSRC2:TIDIG_COMP_CNT: 0
	.type	__hip_cuid_a0be1fdc2733df22,@object ; @__hip_cuid_a0be1fdc2733df22
	.section	.bss,"aw",@nobits
	.globl	__hip_cuid_a0be1fdc2733df22
__hip_cuid_a0be1fdc2733df22:
	.byte	0                               ; 0x0
	.size	__hip_cuid_a0be1fdc2733df22, 1

	.ident	"AMD clang version 19.0.0git (https://github.com/RadeonOpenCompute/llvm-project roc-6.4.0 25133 c7fe45cf4b819c5991fe208aaa96edf142730f1d)"
	.section	".note.GNU-stack","",@progbits
	.addrsig
	.addrsig_sym __hip_cuid_a0be1fdc2733df22
	.amdgpu_metadata
---
amdhsa.kernels:
  - .args:
      - .actual_access:  read_only
        .address_space:  global
        .offset:         0
        .size:           8
        .value_kind:     global_buffer
      - .offset:         8
        .size:           8
        .value_kind:     by_value
      - .actual_access:  read_only
        .address_space:  global
        .offset:         16
        .size:           8
        .value_kind:     global_buffer
      - .actual_access:  read_only
        .address_space:  global
        .offset:         24
        .size:           8
        .value_kind:     global_buffer
      - .offset:         32
        .size:           8
        .value_kind:     by_value
      - .actual_access:  read_only
        .address_space:  global
        .offset:         40
        .size:           8
        .value_kind:     global_buffer
      - .actual_access:  read_only
        .address_space:  global
        .offset:         48
        .size:           8
        .value_kind:     global_buffer
      - .offset:         56
        .size:           4
        .value_kind:     by_value
      - .actual_access:  read_only
        .address_space:  global
        .offset:         64
        .size:           8
        .value_kind:     global_buffer
      - .actual_access:  read_only
        .address_space:  global
        .offset:         72
        .size:           8
        .value_kind:     global_buffer
      - .address_space:  global
        .offset:         80
        .size:           8
        .value_kind:     global_buffer
    .group_segment_fixed_size: 0
    .kernarg_segment_align: 8
    .kernarg_segment_size: 88
    .language:       OpenCL C
    .language_version:
      - 2
      - 0
    .max_flat_workgroup_size: 128
    .name:           fft_rtc_back_len640_factors_8_10_8_wgs_128_tpt_64_halfLds_dp_ip_CI_unitstride_sbrr_C2R_dirReg
    .private_segment_fixed_size: 0
    .sgpr_count:     26
    .sgpr_spill_count: 0
    .symbol:         fft_rtc_back_len640_factors_8_10_8_wgs_128_tpt_64_halfLds_dp_ip_CI_unitstride_sbrr_C2R_dirReg.kd
    .uniform_work_group_size: 1
    .uses_dynamic_stack: false
    .vgpr_count:     113
    .vgpr_spill_count: 0
    .wavefront_size: 64
amdhsa.target:   amdgcn-amd-amdhsa--gfx906
amdhsa.version:
  - 1
  - 2
...

	.end_amdgpu_metadata
